;; amdgpu-corpus repo=ROCm/rocFFT kind=compiled arch=gfx1201 opt=O3
	.text
	.amdgcn_target "amdgcn-amd-amdhsa--gfx1201"
	.amdhsa_code_object_version 6
	.protected	fft_rtc_back_len100_factors_10_5_2_wgs_200_tpt_10_dim2_dp_op_CI_CI_sbrc_aligned_dirReg ; -- Begin function fft_rtc_back_len100_factors_10_5_2_wgs_200_tpt_10_dim2_dp_op_CI_CI_sbrc_aligned_dirReg
	.globl	fft_rtc_back_len100_factors_10_5_2_wgs_200_tpt_10_dim2_dp_op_CI_CI_sbrc_aligned_dirReg
	.p2align	8
	.type	fft_rtc_back_len100_factors_10_5_2_wgs_200_tpt_10_dim2_dp_op_CI_CI_sbrc_aligned_dirReg,@function
fft_rtc_back_len100_factors_10_5_2_wgs_200_tpt_10_dim2_dp_op_CI_CI_sbrc_aligned_dirReg: ; @fft_rtc_back_len100_factors_10_5_2_wgs_200_tpt_10_dim2_dp_op_CI_CI_sbrc_aligned_dirReg
; %bb.0:
	s_load_b256 s[4:11], s[0:1], 0x0
	v_mul_u32_u24_e32 v1, 0x290, v0
	s_mov_b32 s20, 0x134454ff
	s_mov_b32 s21, 0xbfee6f0e
	;; [unrolled: 1-line block ×4, first 2 shown]
	v_lshrrev_b32_e32 v13, 16, v1
	s_mov_b32 s24, 0x9b97f4a8
	s_mov_b32 s27, 0xbfd3c6ef
	;; [unrolled: 1-line block ×4, first 2 shown]
	v_mul_lo_u16 v2, 0x64, v13
	s_mov_b32 s28, s24
	s_delay_alu instid0(VALU_DEP_1)
	v_sub_nc_u16 v46, v0, v2
	v_mov_b32_e32 v2, 0
	s_wait_kmcnt 0x0
	s_load_b32 s2, s[6:7], 0x8
	s_load_b128 s[12:15], s[8:9], 0x0
	v_and_b32_e32 v5, 0xffff, v46
	s_load_b64 s[8:9], s[8:9], 0x10
	s_wait_kmcnt 0x0
	s_mov_b32 s15, 0
	v_mov_b32_e32 v91, v2
	v_mov_b32_e32 v95, v2
	;; [unrolled: 1-line block ×4, first 2 shown]
	s_add_co_i32 s2, s2, -1
	v_mad_co_u64_u32 v[3:4], null, s12, v5, 0
	s_mul_hi_u32 s2, s2, 0xcccccccd
	s_delay_alu instid0(SALU_CYCLE_1) | instskip(NEXT) | instid1(SALU_CYCLE_1)
	s_lshr_b32 s6, s2, 4
	s_add_co_i32 s16, s6, 1
	s_not_b32 s6, s6
	s_cvt_f32_u32 s2, s16
	s_delay_alu instid0(VALU_DEP_1) | instskip(NEXT) | instid1(SALU_CYCLE_2)
	v_mad_co_u64_u32 v[4:5], null, s13, v5, v[4:5]
	v_rcp_iflag_f32_e32 v1, s2
	s_delay_alu instid0(VALU_DEP_1) | instskip(NEXT) | instid1(TRANS32_DEP_1)
	v_lshlrev_b64_e32 v[3:4], 4, v[3:4]
	v_readfirstlane_b32 s2, v1
	v_mul_lo_u32 v1, s14, v13
	v_lshlrev_b32_e32 v13, 4, v13
	s_delay_alu instid0(VALU_DEP_3) | instskip(SKIP_1) | instid1(SALU_CYCLE_2)
	s_mul_f32 s2, s2, 0x4f7ffffe
	s_wait_alu 0xfffe
	s_cvt_u32_f32 s7, s2
	s_load_b128 s[0:3], s[0:1], 0x50
	s_delay_alu instid0(VALU_DEP_2) | instskip(NEXT) | instid1(SALU_CYCLE_1)
	v_lshlrev_b64_e32 v[5:6], 4, v[1:2]
	s_mul_i32 s6, s6, s7
	s_delay_alu instid0(SALU_CYCLE_1) | instskip(NEXT) | instid1(SALU_CYCLE_1)
	s_mul_hi_u32 s6, s7, s6
	s_add_co_i32 s7, s7, s6
	s_delay_alu instid0(SALU_CYCLE_1)
	s_mul_hi_u32 s6, ttmp9, s7
	s_mov_b32 s7, s15
	s_mul_i32 s12, s6, s16
	s_add_co_i32 s13, s6, 1
	s_wait_alu 0xfffe
	s_sub_co_i32 s12, ttmp9, s12
	s_wait_alu 0xfffe
	s_sub_co_i32 s17, s12, s16
	s_cmp_ge_u32 s12, s16
	s_cselect_b32 s6, s13, s6
	s_cselect_b32 s12, s17, s12
	s_add_co_i32 s13, s6, 1
	s_wait_alu 0xfffe
	s_cmp_ge_u32 s12, s16
	s_mov_b32 s17, 0x3fe2cf23
	s_cselect_b32 s6, s13, s6
	s_lshl_b32 s12, s14, 1
	s_mul_i32 s13, s6, s16
	s_wait_alu 0xfffe
	v_add_nc_u32_e32 v1, s12, v1
	s_sub_co_i32 s22, ttmp9, s13
	s_mul_u64 s[8:9], s[8:9], s[6:7]
	s_mul_i32 s22, s22, 20
	s_lshl_b64 s[8:9], s[8:9], 4
	s_mul_i32 s14, s22, s14
	s_wait_kmcnt 0x0
	s_add_nc_u64 s[0:1], s[0:1], s[8:9]
	s_wait_alu 0xfffe
	s_lshl_b64 s[8:9], s[14:15], 4
	v_lshlrev_b64_e32 v[7:8], 4, v[1:2]
	v_add_nc_u32_e32 v1, s12, v1
	s_add_nc_u64 s[0:1], s[0:1], s[8:9]
	s_mov_b32 s8, 0x372fe950
	v_add_co_u32 v28, vcc_lo, s0, v3
	s_delay_alu instid0(VALU_DEP_2) | instskip(SKIP_2) | instid1(VALU_DEP_4)
	v_lshlrev_b64_e32 v[9:10], 4, v[1:2]
	v_add_nc_u32_e32 v1, s12, v1
	v_add_co_ci_u32_e32 v29, vcc_lo, s1, v4, vcc_lo
	v_add_co_u32 v5, vcc_lo, v28, v5
	s_delay_alu instid0(VALU_DEP_3)
	v_lshlrev_b64_e32 v[3:4], 4, v[1:2]
	v_add_nc_u32_e32 v1, s12, v1
	s_wait_alu 0xfffd
	v_add_co_ci_u32_e32 v6, vcc_lo, v29, v6, vcc_lo
	v_add_co_u32 v7, vcc_lo, v28, v7
	s_wait_alu 0xfffd
	v_add_co_ci_u32_e32 v8, vcc_lo, v29, v8, vcc_lo
	v_add_co_u32 v11, vcc_lo, v28, v9
	v_lshlrev_b64_e32 v[22:23], 4, v[1:2]
	v_add_nc_u32_e32 v1, s12, v1
	s_wait_alu 0xfffd
	v_add_co_ci_u32_e32 v12, vcc_lo, v29, v10, vcc_lo
	v_add_co_u32 v18, vcc_lo, v28, v3
	s_wait_alu 0xfffd
	v_add_co_ci_u32_e32 v19, vcc_lo, v29, v4, vcc_lo
	v_lshlrev_b64_e32 v[24:25], 4, v[1:2]
	v_add_nc_u32_e32 v1, s12, v1
	s_clause 0x3
	global_load_b128 v[3:6], v[5:6], off
	global_load_b128 v[7:10], v[7:8], off
	global_load_b128 v[14:17], v[11:12], off
	global_load_b128 v[18:21], v[18:19], off
	v_add_co_u32 v11, vcc_lo, v28, v22
	s_wait_alu 0xfffd
	v_add_co_ci_u32_e32 v12, vcc_lo, v29, v23, vcc_lo
	v_lshlrev_b64_e32 v[22:23], 4, v[1:2]
	v_add_nc_u32_e32 v1, s12, v1
	v_add_co_u32 v26, vcc_lo, v28, v24
	s_wait_alu 0xfffd
	v_add_co_ci_u32_e32 v27, vcc_lo, v29, v25, vcc_lo
	s_delay_alu instid0(VALU_DEP_3) | instskip(SKIP_4) | instid1(VALU_DEP_3)
	v_lshlrev_b64_e32 v[24:25], 4, v[1:2]
	v_add_nc_u32_e32 v1, s12, v1
	v_add_co_u32 v30, vcc_lo, v28, v22
	s_wait_alu 0xfffd
	v_add_co_ci_u32_e32 v31, vcc_lo, v29, v23, vcc_lo
	v_lshlrev_b64_e32 v[22:23], 4, v[1:2]
	v_add_nc_u32_e32 v1, s12, v1
	v_add_co_u32 v34, vcc_lo, v28, v24
	s_wait_alu 0xfffd
	v_add_co_ci_u32_e32 v35, vcc_lo, v29, v25, vcc_lo
	s_delay_alu instid0(VALU_DEP_3) | instskip(SKIP_4) | instid1(VALU_DEP_4)
	v_lshlrev_b64_e32 v[24:25], 4, v[1:2]
	v_add_co_u32 v38, vcc_lo, v28, v22
	s_wait_alu 0xfffd
	v_add_co_ci_u32_e32 v39, vcc_lo, v29, v23, vcc_lo
	v_mul_u32_u24_e32 v1, 0xccd, v0
	v_add_co_u32 v42, vcc_lo, v28, v24
	s_wait_alu 0xfffd
	v_add_co_ci_u32_e32 v43, vcc_lo, v29, v25, vcc_lo
	s_clause 0x5
	global_load_b128 v[22:25], v[11:12], off
	global_load_b128 v[26:29], v[26:27], off
	;; [unrolled: 1-line block ×6, first 2 shown]
	v_lshrrev_b32_e32 v1, 16, v1
	v_mul_lo_u16 v12, v46, 20
	s_clause 0x1
	s_load_b128 s[12:15], s[10:11], 0x0
	s_load_b64 s[0:1], s[10:11], 0x10
	s_mov_b32 s10, 0x4755a5e
	s_mov_b32 s11, 0xbfe2cf23
	v_mul_lo_u16 v11, v1, 20
	v_and_b32_e32 v46, 0xffff, v12
	v_mul_u32_u24_e32 v47, 0x140, v1
	v_add_nc_u32_e32 v109, 30, v1
	s_mov_b32 s16, s10
	v_sub_nc_u16 v11, v0, v11
	v_lshlrev_b32_e32 v46, 4, v46
	s_mov_b32 s9, 0x3fd3c6ef
	s_mov_b32 s26, s8
	v_subrev_nc_u32_e32 v110, 50, v1
	v_and_b32_e32 v12, 0xffff, v11
	v_add3_u32 v48, 0, v46, v13
	v_add3_u32 v46, 0, v13, v46
	s_wait_loadcnt 0x9
	ds_store_b128 v48, v[3:6]
	s_wait_loadcnt 0x8
	ds_store_b128 v46, v[7:10] offset:32
	s_wait_loadcnt 0x7
	ds_store_b128 v46, v[14:17] offset:64
	;; [unrolled: 2-line block ×9, first 2 shown]
	v_lshlrev_b32_e32 v11, 4, v12
	global_wb scope:SCOPE_SE
	s_wait_dscnt 0x0
	s_wait_kmcnt 0x0
	s_barrier_signal -1
	s_barrier_wait -1
	global_inv scope:SCOPE_SE
	v_add3_u32 v13, 0, v47, v11
	ds_load_b128 v[3:6], v13 offset:16000
	ds_load_b128 v[7:10], v13 offset:22400
	ds_load_b128 v[14:17], v13 offset:9600
	ds_load_b128 v[18:21], v13 offset:28800
	ds_load_b128 v[22:25], v13 offset:6400
	ds_load_b128 v[26:29], v13
	ds_load_b128 v[30:33], v13 offset:12800
	ds_load_b128 v[34:37], v13 offset:19200
	;; [unrolled: 1-line block ×4, first 2 shown]
	global_wb scope:SCOPE_SE
	s_wait_dscnt 0x0
	s_barrier_signal -1
	s_barrier_wait -1
	global_inv scope:SCOPE_SE
	v_cmp_gt_u32_e32 vcc_lo, 0x320, v0
	v_add_nc_u32_e32 v108, 40, v1
	s_mul_u64 s[0:1], s[0:1], s[6:7]
	s_wait_alu 0xfffe
	s_lshl_b64 s[0:1], s[0:1], 4
	s_wait_alu 0xfffe
	s_add_nc_u64 s[0:1], s[0:1], s[2:3]
	v_add_f64_e32 v[54:55], v[28:29], v[24:25]
	v_add_f64_e32 v[46:47], v[5:6], v[9:10]
	;; [unrolled: 1-line block ×8, first 2 shown]
	v_add_f64_e64 v[64:65], v[14:15], -v[18:19]
	v_add_f64_e32 v[66:67], v[14:15], v[18:19]
	v_add_f64_e64 v[68:69], v[3:4], -v[7:8]
	v_add_f64_e64 v[80:81], v[16:17], -v[20:21]
	;; [unrolled: 1-line block ×6, first 2 shown]
	v_add_f64_e32 v[52:53], v[26:27], v[22:23]
	v_add_f64_e64 v[70:71], v[24:25], -v[40:41]
	v_add_f64_e64 v[72:73], v[32:33], -v[36:37]
	;; [unrolled: 1-line block ×4, first 2 shown]
	v_add_f64_e32 v[16:17], v[44:45], v[16:17]
	v_add_f64_e64 v[74:75], v[22:23], -v[30:31]
	v_add_f64_e64 v[76:77], v[30:31], -v[22:23]
	;; [unrolled: 1-line block ×3, first 2 shown]
	v_add_f64_e32 v[32:33], v[54:55], v[32:33]
	v_fma_f64 v[46:47], v[46:47], -0.5, v[44:45]
	v_fma_f64 v[50:51], v[50:51], -0.5, v[42:43]
	;; [unrolled: 1-line block ×3, first 2 shown]
	v_add_f64_e32 v[54:55], v[42:43], v[14:15]
	v_fma_f64 v[56:57], v[56:57], -0.5, v[26:27]
	v_fma_f64 v[26:27], v[58:59], -0.5, v[26:27]
	;; [unrolled: 1-line block ×4, first 2 shown]
	v_add_f64_e64 v[60:61], v[14:15], -v[3:4]
	v_fma_f64 v[42:43], v[66:67], -0.5, v[42:43]
	v_add_f64_e64 v[66:67], v[5:6], -v[9:10]
	v_add_f64_e64 v[14:15], v[3:4], -v[14:15]
	v_add_f64_e32 v[82:83], v[82:83], v[84:85]
	v_add_f64_e64 v[84:85], v[18:19], -v[7:8]
	v_add_f64_e32 v[86:87], v[86:87], v[88:89]
	v_add_f64_e32 v[52:53], v[52:53], v[30:31]
	v_add_f64_e64 v[30:31], v[30:31], -v[34:35]
	v_add_f64_e32 v[5:6], v[16:17], v[5:6]
	v_add_f64_e64 v[16:17], v[34:35], -v[38:39]
	v_add_f64_e32 v[32:33], v[32:33], v[36:37]
	v_fma_f64 v[44:45], v[64:65], s[18:19], v[46:47]
	v_fma_f64 v[46:47], v[64:65], s[20:21], v[46:47]
	;; [unrolled: 1-line block ×6, first 2 shown]
	v_add_f64_e32 v[3:4], v[54:55], v[3:4]
	v_add_f64_e64 v[54:55], v[40:41], -v[36:37]
	v_add_f64_e32 v[60:61], v[60:61], v[84:85]
	v_add_f64_e32 v[5:6], v[5:6], v[9:10]
	;; [unrolled: 1-line block ×4, first 2 shown]
	v_fma_f64 v[44:45], v[68:69], s[16:17], v[44:45]
	v_fma_f64 v[46:47], v[68:69], s[10:11], v[46:47]
	v_add_f64_e64 v[68:69], v[7:8], -v[18:19]
	v_fma_f64 v[62:63], v[64:65], s[16:17], v[62:63]
	v_fma_f64 v[48:49], v[64:65], s[10:11], v[48:49]
	;; [unrolled: 1-line block ×5, first 2 shown]
	v_add_f64_e64 v[88:89], v[38:39], -v[34:35]
	v_fma_f64 v[50:51], v[66:67], s[16:17], v[50:51]
	v_fma_f64 v[66:67], v[70:71], s[20:21], v[56:57]
	;; [unrolled: 1-line block ×3, first 2 shown]
	v_add_f64_e32 v[34:35], v[52:53], v[34:35]
	v_add_f64_e32 v[3:4], v[3:4], v[7:8]
	;; [unrolled: 1-line block ×4, first 2 shown]
	v_fma_f64 v[44:45], v[82:83], s[8:9], v[44:45]
	v_fma_f64 v[46:47], v[82:83], s[8:9], v[46:47]
	v_add_f64_e32 v[14:15], v[14:15], v[68:69]
	v_fma_f64 v[82:83], v[22:23], s[18:19], v[58:59]
	v_fma_f64 v[62:63], v[86:87], s[8:9], v[62:63]
	;; [unrolled: 1-line block ×8, first 2 shown]
	v_add_f64_e64 v[68:69], v[36:37], -v[40:41]
	v_fma_f64 v[80:81], v[72:73], s[18:19], v[26:27]
	v_fma_f64 v[58:59], v[22:23], s[20:21], v[58:59]
	;; [unrolled: 1-line block ×3, first 2 shown]
	v_add_f64_e32 v[74:75], v[74:75], v[88:89]
	v_fma_f64 v[7:8], v[72:73], s[10:11], v[66:67]
	v_fma_f64 v[9:10], v[72:73], s[16:17], v[56:57]
	v_add_f64_e32 v[34:35], v[34:35], v[38:39]
	v_add_f64_e32 v[18:19], v[3:4], v[18:19]
	;; [unrolled: 1-line block ×3, first 2 shown]
	v_fma_f64 v[52:53], v[30:31], s[16:17], v[82:83]
	v_fma_f64 v[56:57], v[22:23], s[16:17], v[86:87]
	;; [unrolled: 1-line block ×6, first 2 shown]
	v_mul_f64_e32 v[42:43], s[10:11], v[44:45]
	v_mul_f64_e32 v[66:67], s[16:17], v[84:85]
	v_add_f64_e32 v[24:25], v[24:25], v[68:69]
	v_fma_f64 v[36:37], v[70:71], s[10:11], v[80:81]
	v_fma_f64 v[30:31], v[30:31], s[10:11], v[58:59]
	v_mul_f64_e32 v[58:59], s[20:21], v[62:63]
	v_mul_f64_e32 v[62:63], s[8:9], v[62:63]
	v_fma_f64 v[26:27], v[70:71], s[16:17], v[26:27]
	v_mul_f64_e32 v[60:61], s[20:21], v[48:49]
	v_mul_f64_e32 v[48:49], s[26:27], v[48:49]
	;; [unrolled: 1-line block ×4, first 2 shown]
	v_fma_f64 v[38:39], v[74:75], s[8:9], v[7:8]
	v_fma_f64 v[68:69], v[74:75], s[8:9], v[9:10]
	v_add_f64_e32 v[3:4], v[34:35], v[18:19]
	v_add_f64_e64 v[9:10], v[32:33], -v[20:21]
	v_add_f64_e64 v[7:8], v[34:35], -v[18:19]
	v_fma_f64 v[52:53], v[54:55], s[8:9], v[52:53]
	v_fma_f64 v[42:43], v[84:85], s[24:25], v[42:43]
	;; [unrolled: 1-line block ×14, first 2 shown]
	v_mul_lo_u16 v62, v1, 26
	s_delay_alu instid0(VALU_DEP_1) | instskip(NEXT) | instid1(VALU_DEP_1)
	v_lshrrev_b16 v19, 8, v62
	v_mul_lo_u16 v18, v19, 10
	v_and_b32_e32 v19, 0xffff, v19
	s_delay_alu instid0(VALU_DEP_2) | instskip(NEXT) | instid1(VALU_DEP_1)
	v_sub_nc_u16 v18, v1, v18
	v_and_b32_e32 v18, 0xff, v18
	v_add_f64_e32 v[14:15], v[38:39], v[42:43]
	v_add_f64_e32 v[16:17], v[52:53], v[66:67]
	v_add_f64_e64 v[32:33], v[38:39], -v[42:43]
	v_add_f64_e64 v[34:35], v[52:53], -v[66:67]
	v_add_f64_e32 v[20:21], v[36:37], v[58:59]
	v_add_f64_e32 v[22:23], v[56:57], v[50:51]
	v_add_f64_e64 v[36:37], v[36:37], -v[58:59]
	v_add_f64_e32 v[24:25], v[40:41], v[60:61]
	v_add_f64_e32 v[26:27], v[70:71], v[48:49]
	;; [unrolled: 3-line block ×3, first 2 shown]
	v_add_f64_e64 v[40:41], v[40:41], -v[60:61]
	v_add_f64_e64 v[42:43], v[70:71], -v[48:49]
	;; [unrolled: 1-line block ×4, first 2 shown]
	v_mad_u32_u24 v48, 0xb40, v1, v13
	v_lshlrev_b32_e32 v49, 6, v18
	ds_store_b128 v48, v[3:6]
	ds_store_b128 v48, v[14:17] offset:320
	ds_store_b128 v48, v[20:23] offset:640
	;; [unrolled: 1-line block ×9, first 2 shown]
	global_wb scope:SCOPE_SE
	s_wait_dscnt 0x0
	s_barrier_signal -1
	s_barrier_wait -1
	global_inv scope:SCOPE_SE
	s_clause 0x2
	global_load_b128 v[3:6], v49, s[4:5]
	global_load_b128 v[7:10], v49, s[4:5] offset:16
	global_load_b128 v[22:25], v49, s[4:5] offset:32
	v_add_nc_u32_e32 v15, 10, v1
	s_delay_alu instid0(VALU_DEP_1) | instskip(NEXT) | instid1(VALU_DEP_1)
	v_mul_lo_u16 v14, 0x67, v15
	v_lshrrev_b16 v21, 10, v14
	s_delay_alu instid0(VALU_DEP_1) | instskip(NEXT) | instid1(VALU_DEP_1)
	v_mul_lo_u16 v14, v21, 10
	v_sub_nc_u16 v14, v15, v14
	s_delay_alu instid0(VALU_DEP_1) | instskip(NEXT) | instid1(VALU_DEP_1)
	v_and_b32_e32 v20, 0xff, v14
	v_lshlrev_b32_e32 v14, 6, v20
	s_clause 0x4
	global_load_b128 v[26:29], v49, s[4:5] offset:48
	global_load_b128 v[30:33], v14, s[4:5]
	global_load_b128 v[34:37], v14, s[4:5] offset:16
	global_load_b128 v[38:41], v14, s[4:5] offset:32
	;; [unrolled: 1-line block ×3, first 2 shown]
	v_add_nc_u32_e32 v14, 20, v1
	s_delay_alu instid0(VALU_DEP_1) | instskip(NEXT) | instid1(VALU_DEP_1)
	v_mul_u32_u24_e32 v16, 0x140, v14
	v_add3_u32 v16, 0, v16, v11
	ds_load_b128 v[46:49], v16
	ds_load_b128 v[50:53], v16 offset:6400
	ds_load_b128 v[54:57], v13 offset:19200
	ds_load_b128 v[58:61], v13 offset:28800
	v_add_nc_u32_e32 v17, 0xfffff380, v16
	ds_load_b128 v[66:69], v13 offset:16000
	ds_load_b128 v[62:65], v17
	ds_load_b128 v[70:73], v13 offset:25600
	ds_load_b128 v[74:77], v13 offset:9600
	s_wait_loadcnt_dscnt 0x707
	v_mul_f64_e32 v[78:79], v[48:49], v[5:6]
	v_mul_f64_e32 v[5:6], v[46:47], v[5:6]
	s_wait_loadcnt_dscnt 0x606
	v_mul_f64_e32 v[80:81], v[52:53], v[9:10]
	v_mul_f64_e32 v[9:10], v[50:51], v[9:10]
	s_wait_loadcnt_dscnt 0x505
	v_mul_f64_e32 v[82:83], v[56:57], v[24:25]
	v_mul_f64_e32 v[24:25], v[54:55], v[24:25]
	v_fma_f64 v[78:79], v[46:47], v[3:4], v[78:79]
	v_fma_f64 v[84:85], v[48:49], v[3:4], -v[5:6]
	ds_load_b128 v[46:49], v13 offset:22400
	s_wait_loadcnt_dscnt 0x402
	v_mul_f64_e32 v[3:4], v[72:73], v[28:29]
	v_mul_f64_e32 v[5:6], v[70:71], v[28:29]
	v_fma_f64 v[28:29], v[50:51], v[7:8], v[80:81]
	v_fma_f64 v[50:51], v[52:53], v[7:8], -v[9:10]
	s_wait_loadcnt_dscnt 0x301
	v_mul_f64_e32 v[7:8], v[76:77], v[32:33]
	v_mul_f64_e32 v[9:10], v[74:75], v[32:33]
	s_wait_loadcnt 0x2
	v_mul_f64_e32 v[32:33], v[68:69], v[36:37]
	v_mul_f64_e32 v[36:37], v[66:67], v[36:37]
	v_fma_f64 v[52:53], v[54:55], v[22:23], v[82:83]
	v_fma_f64 v[54:55], v[56:57], v[22:23], -v[24:25]
	s_wait_loadcnt 0x0
	v_mul_f64_e32 v[24:25], v[60:61], v[44:45]
	v_mul_f64_e32 v[44:45], v[58:59], v[44:45]
	s_wait_dscnt 0x0
	v_mul_f64_e32 v[22:23], v[48:49], v[40:41]
	v_mul_f64_e32 v[40:41], v[46:47], v[40:41]
	v_fma_f64 v[3:4], v[70:71], v[26:27], v[3:4]
	v_fma_f64 v[5:6], v[72:73], v[26:27], -v[5:6]
	v_add_f64_e64 v[70:71], v[28:29], -v[78:79]
	v_add_f64_e64 v[80:81], v[84:85], -v[50:51]
	v_fma_f64 v[26:27], v[74:75], v[30:31], v[7:8]
	v_fma_f64 v[30:31], v[76:77], v[30:31], -v[9:10]
	v_fma_f64 v[32:33], v[66:67], v[34:35], v[32:33]
	v_fma_f64 v[34:35], v[68:69], v[34:35], -v[36:37]
	v_add_f64_e64 v[66:67], v[78:79], -v[28:29]
	v_add_f64_e64 v[86:87], v[50:51], -v[84:85]
	v_fma_f64 v[7:8], v[58:59], v[42:43], v[24:25]
	v_fma_f64 v[9:10], v[60:61], v[42:43], -v[44:45]
	v_add_f64_e32 v[44:45], v[50:51], v[54:55]
	v_fma_f64 v[36:37], v[46:47], v[38:39], v[22:23]
	v_fma_f64 v[38:39], v[48:49], v[38:39], -v[40:41]
	v_add_f64_e32 v[40:41], v[28:29], v[52:53]
	ds_load_b128 v[22:25], v13
	global_wb scope:SCOPE_SE
	s_wait_dscnt 0x0
	s_barrier_signal -1
	s_barrier_wait -1
	global_inv scope:SCOPE_SE
	v_add_f64_e32 v[42:43], v[78:79], v[3:4]
	v_add_f64_e32 v[46:47], v[84:85], v[5:6]
	v_add_f64_e64 v[68:69], v[3:4], -v[52:53]
	v_add_f64_e64 v[72:73], v[52:53], -v[3:4]
	v_add_f64_e64 v[82:83], v[5:6], -v[54:55]
	v_add_f64_e64 v[88:89], v[54:55], -v[5:6]
	v_add_f64_e32 v[74:75], v[22:23], v[78:79]
	v_add_f64_e32 v[76:77], v[24:25], v[84:85]
	v_add_f64_e64 v[84:85], v[84:85], -v[5:6]
	v_add_f64_e64 v[78:79], v[78:79], -v[3:4]
	v_add_f64_e32 v[56:57], v[26:27], v[7:8]
	v_add_f64_e32 v[60:61], v[30:31], v[9:10]
	;; [unrolled: 1-line block ×4, first 2 shown]
	v_fma_f64 v[40:41], v[40:41], -0.5, v[22:23]
	v_fma_f64 v[22:23], v[42:43], -0.5, v[22:23]
	;; [unrolled: 1-line block ×4, first 2 shown]
	v_add_f64_e32 v[44:45], v[62:63], v[26:27]
	v_add_f64_e64 v[46:47], v[26:27], -v[32:33]
	v_add_f64_e32 v[66:67], v[66:67], v[68:69]
	v_add_f64_e64 v[68:69], v[32:33], -v[26:27]
	;; [unrolled: 2-line block ×3, first 2 shown]
	v_add_f64_e32 v[80:81], v[80:81], v[82:83]
	v_fma_f64 v[56:57], v[56:57], -0.5, v[62:63]
	v_fma_f64 v[60:61], v[60:61], -0.5, v[64:65]
	v_add_f64_e64 v[82:83], v[30:31], -v[34:35]
	v_add_f64_e32 v[86:87], v[86:87], v[88:89]
	v_add_f64_e64 v[88:89], v[9:10], -v[38:39]
	v_add_f64_e32 v[76:77], v[76:77], v[50:51]
	;; [unrolled: 2-line block ×3, first 2 shown]
	v_add_f64_e64 v[28:29], v[28:29], -v[52:53]
	v_fma_f64 v[48:49], v[48:49], -0.5, v[62:63]
	v_fma_f64 v[58:59], v[58:59], -0.5, v[64:65]
	v_add_f64_e32 v[62:63], v[64:65], v[30:31]
	v_add_f64_e64 v[64:65], v[7:8], -v[36:37]
	v_add_f64_e64 v[26:27], v[26:27], -v[7:8]
	v_add_f64_e32 v[44:45], v[44:45], v[32:33]
	v_add_f64_e64 v[32:33], v[32:33], -v[36:37]
	v_add_f64_e32 v[68:69], v[68:69], v[72:73]
	v_add_f64_e64 v[72:73], v[38:39], -v[9:10]
	v_add_f64_e32 v[82:83], v[82:83], v[88:89]
	v_fma_f64 v[88:89], v[84:85], s[20:21], v[40:41]
	v_fma_f64 v[40:41], v[84:85], s[18:19], v[40:41]
	v_add_f64_e32 v[52:53], v[74:75], v[52:53]
	v_fma_f64 v[74:75], v[78:79], s[18:19], v[42:43]
	v_add_f64_e32 v[54:55], v[76:77], v[54:55]
	;; [unrolled: 2-line block ×3, first 2 shown]
	v_add_f64_e32 v[46:47], v[46:47], v[64:65]
	v_add_f64_e64 v[64:65], v[34:35], -v[30:31]
	v_add_f64_e64 v[30:31], v[30:31], -v[9:10]
	;; [unrolled: 1-line block ×3, first 2 shown]
	v_fma_f64 v[24:25], v[28:29], s[18:19], v[24:25]
	v_fma_f64 v[42:43], v[78:79], s[20:21], v[42:43]
	v_add_f64_e32 v[36:37], v[44:45], v[36:37]
	v_fma_f64 v[88:89], v[50:51], s[10:11], v[88:89]
	v_fma_f64 v[40:41], v[50:51], s[16:17], v[40:41]
	v_add_f64_e32 v[3:4], v[52:53], v[3:4]
	v_fma_f64 v[74:75], v[28:29], s[16:17], v[74:75]
	v_add_f64_e32 v[5:6], v[54:55], v[5:6]
	;; [unrolled: 2-line block ×3, first 2 shown]
	v_add_f64_e32 v[64:65], v[64:65], v[72:73]
	v_fma_f64 v[72:73], v[50:51], s[18:19], v[22:23]
	v_fma_f64 v[22:23], v[50:51], s[20:21], v[22:23]
	;; [unrolled: 1-line block ×10, first 2 shown]
	v_subrev_nc_u32_e32 v24, 40, v1
	s_wait_alu 0xfffd
	s_delay_alu instid0(VALU_DEP_1) | instskip(SKIP_3) | instid1(VALU_DEP_4)
	v_cndmask_b32_e32 v90, v24, v15, vcc_lo
	v_cmp_gt_u32_e32 vcc_lo, 0x258, v0
	v_add_nc_u32_e32 v24, -10, v1
	v_add_f64_e32 v[7:8], v[36:37], v[7:8]
	v_lshlrev_b64_e32 v[102:103], 4, v[90:91]
	v_and_b32_e32 v91, 0xffff, v21
	v_add_f64_e32 v[9:10], v[38:39], v[9:10]
	v_fma_f64 v[72:73], v[84:85], s[10:11], v[72:73]
	v_fma_f64 v[84:85], v[84:85], s[16:17], v[22:23]
	;; [unrolled: 1-line block ×16, first 2 shown]
	v_subrev_nc_u32_e32 v22, 30, v1
	v_subrev_nc_u32_e32 v23, 20, v1
	v_fma_f64 v[25:26], v[66:67], s[8:9], v[40:41]
	v_fma_f64 v[27:28], v[80:81], s[8:9], v[42:43]
	;; [unrolled: 1-line block ×3, first 2 shown]
	s_wait_alu 0xfffd
	v_cndmask_b32_e32 v92, v22, v14, vcc_lo
	v_cmp_gt_u32_e32 vcc_lo, 0x190, v0
	v_fma_f64 v[21:22], v[66:67], s[8:9], v[88:89]
	v_fma_f64 v[39:40], v[82:83], s[8:9], v[98:99]
	;; [unrolled: 1-line block ×4, first 2 shown]
	s_wait_alu 0xfffd
	v_cndmask_b32_e32 v94, v23, v109, vcc_lo
	v_cmp_gt_u32_e32 vcc_lo, 0xc8, v0
	v_fma_f64 v[49:50], v[68:69], s[8:9], v[56:57]
	v_fma_f64 v[43:44], v[82:83], s[8:9], v[58:59]
	v_lshlrev_b64_e32 v[53:54], 4, v[92:93]
	v_lshlrev_b64_e32 v[104:105], 4, v[94:95]
	s_wait_alu 0xfffd
	v_cndmask_b32_e32 v96, v24, v108, vcc_lo
	v_fma_f64 v[23:24], v[80:81], s[8:9], v[74:75]
	v_add_co_u32 v55, vcc_lo, s4, v102
	s_wait_alu 0xfffd
	v_add_co_ci_u32_e32 v56, vcc_lo, s5, v103, vcc_lo
	v_cmp_gt_u32_e32 vcc_lo, 0x3e8, v0
	v_mad_u32_u24 v57, v19, 50, v18
	v_lshlrev_b64_e32 v[106:107], 4, v[96:97]
	s_wait_alu 0xfffd
	v_cndmask_b32_e32 v1, v110, v1, vcc_lo
	v_add_co_u32 v18, vcc_lo, s4, v53
	s_wait_alu 0xfffd
	v_add_co_ci_u32_e32 v19, vcc_lo, s5, v54, vcc_lo
	s_delay_alu instid0(VALU_DEP_3)
	v_lshlrev_b64_e32 v[53:54], 4, v[1:2]
	v_mad_u32_u24 v20, v91, 50, v20
	v_mul_u32_u24_e32 v59, 0x140, v57
	v_fma_f64 v[47:48], v[64:65], s[8:9], v[100:101]
	v_fma_f64 v[51:52], v[64:65], s[8:9], v[60:61]
	v_add_co_u32 v57, vcc_lo, s4, v104
	s_wait_alu 0xfffd
	v_add_co_ci_u32_e32 v58, vcc_lo, s5, v105, vcc_lo
	v_add_co_u32 v53, vcc_lo, s4, v53
	v_mul_u32_u24_e32 v20, 0x140, v20
	v_add3_u32 v59, 0, v59, v11
	s_wait_alu 0xfffd
	v_add_co_ci_u32_e32 v54, vcc_lo, s5, v54, vcc_lo
	v_mul_u32_u24_e32 v64, 0x140, v109
	v_add3_u32 v20, 0, v20, v11
	ds_store_b128 v59, v[3:6]
	ds_store_b128 v59, v[21:24] offset:3200
	ds_store_b128 v59, v[29:32] offset:6400
	;; [unrolled: 1-line block ×4, first 2 shown]
	ds_store_b128 v20, v[7:10]
	ds_store_b128 v20, v[37:40] offset:3200
	ds_store_b128 v20, v[45:48] offset:6400
	;; [unrolled: 1-line block ×4, first 2 shown]
	global_wb scope:SCOPE_SE
	s_wait_dscnt 0x0
	s_barrier_signal -1
	s_barrier_wait -1
	global_inv scope:SCOPE_SE
	s_clause 0x1
	global_load_b128 v[3:6], v[53:54], off offset:640
	global_load_b128 v[7:10], v[55:56], off offset:640
	v_add_co_u32 v26, vcc_lo, s4, v106
	s_wait_alu 0xfffd
	v_add_co_ci_u32_e32 v27, vcc_lo, s5, v107, vcc_lo
	s_clause 0x2
	global_load_b128 v[18:21], v[18:19], off offset:640
	global_load_b128 v[22:25], v[57:58], off offset:640
	;; [unrolled: 1-line block ×3, first 2 shown]
	ds_load_b128 v[30:33], v13 offset:16000
	ds_load_b128 v[34:37], v13 offset:19200
	;; [unrolled: 1-line block ×5, first 2 shown]
	ds_load_b128 v[50:53], v13
	v_add_co_u32 v66, s4, s22, v12
	v_cmp_lt_u32_e32 vcc_lo, 0x3e7, v0
	v_add3_u32 v11, 0, v64, v11
	s_wait_alu 0xf1ff
	v_add_co_ci_u32_e64 v67, null, 0, 0, s4
	v_sub_nc_u32_e32 v65, v15, v90
	s_wait_alu 0xfffd
	v_cndmask_b32_e64 v0, 0, 0x64, vcc_lo
	s_mul_i32 s4, s14, 50
	s_delay_alu instid0(VALU_DEP_2) | instskip(NEXT) | instid1(VALU_DEP_2)
	v_add_nc_u32_e32 v15, v65, v15
	v_add_nc_u32_e32 v0, v1, v0
	s_delay_alu instid0(VALU_DEP_1) | instskip(SKIP_1) | instid1(VALU_DEP_1)
	v_mul_lo_u32 v1, v0, s14
	v_sub_nc_u32_e32 v0, v14, v92
	v_add_nc_u32_e32 v0, v0, v14
	s_wait_loadcnt_dscnt 0x405
	v_mul_f64_e32 v[54:55], v[32:33], v[5:6]
	v_mul_f64_e32 v[5:6], v[30:31], v[5:6]
	s_wait_loadcnt_dscnt 0x304
	v_mul_f64_e32 v[56:57], v[36:37], v[9:10]
	v_mul_f64_e32 v[9:10], v[34:35], v[9:10]
	;; [unrolled: 3-line block ×5, first 2 shown]
	v_fma_f64 v[12:13], v[30:31], v[3:4], v[54:55]
	v_fma_f64 v[30:31], v[32:33], v[3:4], -v[5:6]
	v_fma_f64 v[32:33], v[34:35], v[7:8], v[56:57]
	v_fma_f64 v[34:35], v[36:37], v[7:8], -v[9:10]
	ds_load_b128 v[3:6], v17
	v_fma_f64 v[36:37], v[38:39], v[18:19], v[58:59]
	v_fma_f64 v[38:39], v[40:41], v[18:19], -v[20:21]
	v_fma_f64 v[40:41], v[42:43], v[22:23], v[60:61]
	v_fma_f64 v[42:43], v[44:45], v[22:23], -v[24:25]
	ds_load_b128 v[21:24], v16 offset:6400
	v_fma_f64 v[44:45], v[46:47], v[26:27], v[62:63]
	v_fma_f64 v[46:47], v[48:49], v[26:27], -v[28:29]
	ds_load_b128 v[7:10], v16
	ds_load_b128 v[17:20], v11
	v_mul_lo_u32 v27, v67, s12
	v_mul_lo_u32 v28, v66, s13
	v_mad_co_u64_u32 v[25:26], null, v66, s12, 0
	v_sub_nc_u32_e32 v11, v109, v94
	v_lshlrev_b64_e32 v[48:49], 4, v[1:2]
	s_wait_alu 0xfffe
	v_add_nc_u32_e32 v1, s4, v1
	v_sub_nc_u32_e32 v60, v108, v96
	v_add_nc_u32_e32 v61, v11, v109
	v_add3_u32 v26, v26, v28, v27
	s_delay_alu instid0(VALU_DEP_4) | instskip(SKIP_1) | instid1(VALU_DEP_3)
	v_lshlrev_b64_e32 v[54:55], 4, v[1:2]
	v_mul_lo_u32 v1, v15, s14
	v_lshlrev_b64_e32 v[56:57], 4, v[25:26]
	s_delay_alu instid0(VALU_DEP_2) | instskip(SKIP_1) | instid1(VALU_DEP_3)
	v_lshlrev_b64_e32 v[15:16], 4, v[1:2]
	v_add_nc_u32_e32 v1, s4, v1
	v_add_co_u32 v64, vcc_lo, s0, v56
	s_wait_dscnt 0x4
	v_add_f64_e64 v[11:12], v[50:51], -v[12:13]
	v_add_f64_e64 v[13:14], v[52:53], -v[30:31]
	s_wait_dscnt 0x3
	v_add_f64_e64 v[25:26], v[3:4], -v[32:33]
	v_add_f64_e64 v[27:28], v[5:6], -v[34:35]
	v_lshlrev_b64_e32 v[58:59], 4, v[1:2]
	s_wait_dscnt 0x1
	v_add_f64_e64 v[29:30], v[7:8], -v[36:37]
	v_add_f64_e64 v[31:32], v[9:10], -v[38:39]
	s_wait_dscnt 0x0
	v_add_f64_e64 v[33:34], v[17:18], -v[40:41]
	v_add_f64_e64 v[35:36], v[19:20], -v[42:43]
	v_mul_lo_u32 v1, v0, s14
	v_add_f64_e64 v[37:38], v[21:22], -v[44:45]
	v_add_f64_e64 v[39:40], v[23:24], -v[46:47]
	s_wait_alu 0xfffd
	v_add_co_ci_u32_e32 v65, vcc_lo, s1, v57, vcc_lo
	v_add_co_u32 v45, vcc_lo, v64, v48
	v_add_nc_u32_e32 v0, v60, v108
	v_lshlrev_b64_e32 v[47:48], 4, v[1:2]
	v_add_nc_u32_e32 v1, s4, v1
	s_wait_alu 0xfffd
	v_add_co_ci_u32_e32 v46, vcc_lo, v65, v49, vcc_lo
	v_add_co_u32 v54, vcc_lo, v64, v54
	s_wait_alu 0xfffd
	v_add_co_ci_u32_e32 v55, vcc_lo, v65, v55, vcc_lo
	v_lshlrev_b64_e32 v[56:57], 4, v[1:2]
	v_mul_lo_u32 v1, v61, s14
	v_add_co_u32 v60, vcc_lo, v64, v15
	s_wait_alu 0xfffd
	v_add_co_ci_u32_e32 v61, vcc_lo, v65, v16, vcc_lo
	v_add_co_u32 v58, vcc_lo, v64, v58
	s_wait_alu 0xfffd
	v_add_co_ci_u32_e32 v59, vcc_lo, v65, v59, vcc_lo
	v_lshlrev_b64_e32 v[62:63], 4, v[1:2]
	v_add_nc_u32_e32 v1, s4, v1
	v_fma_f64 v[41:42], v[50:51], 2.0, -v[11:12]
	v_fma_f64 v[43:44], v[52:53], 2.0, -v[13:14]
	;; [unrolled: 1-line block ×10, first 2 shown]
	v_add_co_u32 v23, vcc_lo, v64, v47
	s_wait_alu 0xfffd
	v_add_co_ci_u32_e32 v24, vcc_lo, v65, v48, vcc_lo
	v_lshlrev_b64_e32 v[47:48], 4, v[1:2]
	v_mul_lo_u32 v1, v0, s14
	v_add_co_u32 v49, vcc_lo, v64, v56
	s_wait_alu 0xfffd
	v_add_co_ci_u32_e32 v50, vcc_lo, v65, v57, vcc_lo
	v_add_co_u32 v51, vcc_lo, v64, v62
	s_wait_alu 0xfffd
	v_add_co_ci_u32_e32 v52, vcc_lo, v65, v63, vcc_lo
	v_lshlrev_b64_e32 v[56:57], 4, v[1:2]
	v_add_nc_u32_e32 v1, s4, v1
	v_add_co_u32 v47, vcc_lo, v64, v47
	s_wait_alu 0xfffd
	v_add_co_ci_u32_e32 v48, vcc_lo, v65, v48, vcc_lo
	s_delay_alu instid0(VALU_DEP_3) | instskip(SKIP_3) | instid1(VALU_DEP_3)
	v_lshlrev_b64_e32 v[0:1], 4, v[1:2]
	v_add_co_u32 v56, vcc_lo, v64, v56
	s_wait_alu 0xfffd
	v_add_co_ci_u32_e32 v57, vcc_lo, v65, v57, vcc_lo
	v_add_co_u32 v0, vcc_lo, v64, v0
	s_wait_alu 0xfffd
	v_add_co_ci_u32_e32 v1, vcc_lo, v65, v1, vcc_lo
	s_clause 0x9
	global_store_b128 v[45:46], v[41:44], off
	global_store_b128 v[54:55], v[11:14], off
	;; [unrolled: 1-line block ×10, first 2 shown]
	s_nop 0
	s_sendmsg sendmsg(MSG_DEALLOC_VGPRS)
	s_endpgm
	.section	.rodata,"a",@progbits
	.p2align	6, 0x0
	.amdhsa_kernel fft_rtc_back_len100_factors_10_5_2_wgs_200_tpt_10_dim2_dp_op_CI_CI_sbrc_aligned_dirReg
		.amdhsa_group_segment_fixed_size 0
		.amdhsa_private_segment_fixed_size 0
		.amdhsa_kernarg_size 96
		.amdhsa_user_sgpr_count 2
		.amdhsa_user_sgpr_dispatch_ptr 0
		.amdhsa_user_sgpr_queue_ptr 0
		.amdhsa_user_sgpr_kernarg_segment_ptr 1
		.amdhsa_user_sgpr_dispatch_id 0
		.amdhsa_user_sgpr_private_segment_size 0
		.amdhsa_wavefront_size32 1
		.amdhsa_uses_dynamic_stack 0
		.amdhsa_enable_private_segment 0
		.amdhsa_system_sgpr_workgroup_id_x 1
		.amdhsa_system_sgpr_workgroup_id_y 0
		.amdhsa_system_sgpr_workgroup_id_z 0
		.amdhsa_system_sgpr_workgroup_info 0
		.amdhsa_system_vgpr_workitem_id 0
		.amdhsa_next_free_vgpr 111
		.amdhsa_next_free_sgpr 30
		.amdhsa_reserve_vcc 1
		.amdhsa_float_round_mode_32 0
		.amdhsa_float_round_mode_16_64 0
		.amdhsa_float_denorm_mode_32 3
		.amdhsa_float_denorm_mode_16_64 3
		.amdhsa_fp16_overflow 0
		.amdhsa_workgroup_processor_mode 1
		.amdhsa_memory_ordered 1
		.amdhsa_forward_progress 0
		.amdhsa_round_robin_scheduling 0
		.amdhsa_exception_fp_ieee_invalid_op 0
		.amdhsa_exception_fp_denorm_src 0
		.amdhsa_exception_fp_ieee_div_zero 0
		.amdhsa_exception_fp_ieee_overflow 0
		.amdhsa_exception_fp_ieee_underflow 0
		.amdhsa_exception_fp_ieee_inexact 0
		.amdhsa_exception_int_div_zero 0
	.end_amdhsa_kernel
	.text
.Lfunc_end0:
	.size	fft_rtc_back_len100_factors_10_5_2_wgs_200_tpt_10_dim2_dp_op_CI_CI_sbrc_aligned_dirReg, .Lfunc_end0-fft_rtc_back_len100_factors_10_5_2_wgs_200_tpt_10_dim2_dp_op_CI_CI_sbrc_aligned_dirReg
                                        ; -- End function
	.section	.AMDGPU.csdata,"",@progbits
; Kernel info:
; codeLenInByte = 5168
; NumSgprs: 32
; NumVgprs: 111
; ScratchSize: 0
; MemoryBound: 0
; FloatMode: 240
; IeeeMode: 1
; LDSByteSize: 0 bytes/workgroup (compile time only)
; SGPRBlocks: 3
; VGPRBlocks: 13
; NumSGPRsForWavesPerEU: 32
; NumVGPRsForWavesPerEU: 111
; Occupancy: 12
; WaveLimiterHint : 1
; COMPUTE_PGM_RSRC2:SCRATCH_EN: 0
; COMPUTE_PGM_RSRC2:USER_SGPR: 2
; COMPUTE_PGM_RSRC2:TRAP_HANDLER: 0
; COMPUTE_PGM_RSRC2:TGID_X_EN: 1
; COMPUTE_PGM_RSRC2:TGID_Y_EN: 0
; COMPUTE_PGM_RSRC2:TGID_Z_EN: 0
; COMPUTE_PGM_RSRC2:TIDIG_COMP_CNT: 0
	.text
	.p2alignl 7, 3214868480
	.fill 96, 4, 3214868480
	.type	__hip_cuid_3fcfc4dd93d6ffc6,@object ; @__hip_cuid_3fcfc4dd93d6ffc6
	.section	.bss,"aw",@nobits
	.globl	__hip_cuid_3fcfc4dd93d6ffc6
__hip_cuid_3fcfc4dd93d6ffc6:
	.byte	0                               ; 0x0
	.size	__hip_cuid_3fcfc4dd93d6ffc6, 1

	.ident	"AMD clang version 19.0.0git (https://github.com/RadeonOpenCompute/llvm-project roc-6.4.0 25133 c7fe45cf4b819c5991fe208aaa96edf142730f1d)"
	.section	".note.GNU-stack","",@progbits
	.addrsig
	.addrsig_sym __hip_cuid_3fcfc4dd93d6ffc6
	.amdgpu_metadata
---
amdhsa.kernels:
  - .args:
      - .actual_access:  read_only
        .address_space:  global
        .offset:         0
        .size:           8
        .value_kind:     global_buffer
      - .actual_access:  read_only
        .address_space:  global
        .offset:         8
        .size:           8
        .value_kind:     global_buffer
      - .actual_access:  read_only
        .address_space:  global
        .offset:         16
        .size:           8
        .value_kind:     global_buffer
      - .actual_access:  read_only
        .address_space:  global
        .offset:         24
        .size:           8
        .value_kind:     global_buffer
      - .offset:         32
        .size:           8
        .value_kind:     by_value
      - .actual_access:  read_only
        .address_space:  global
        .offset:         40
        .size:           8
        .value_kind:     global_buffer
      - .actual_access:  read_only
        .address_space:  global
        .offset:         48
        .size:           8
        .value_kind:     global_buffer
      - .offset:         56
        .size:           4
        .value_kind:     by_value
      - .actual_access:  read_only
        .address_space:  global
        .offset:         64
        .size:           8
        .value_kind:     global_buffer
      - .actual_access:  read_only
        .address_space:  global
        .offset:         72
        .size:           8
        .value_kind:     global_buffer
      - .actual_access:  read_only
        .address_space:  global
        .offset:         80
        .size:           8
        .value_kind:     global_buffer
      - .actual_access:  write_only
        .address_space:  global
        .offset:         88
        .size:           8
        .value_kind:     global_buffer
    .group_segment_fixed_size: 0
    .kernarg_segment_align: 8
    .kernarg_segment_size: 96
    .language:       OpenCL C
    .language_version:
      - 2
      - 0
    .max_flat_workgroup_size: 200
    .name:           fft_rtc_back_len100_factors_10_5_2_wgs_200_tpt_10_dim2_dp_op_CI_CI_sbrc_aligned_dirReg
    .private_segment_fixed_size: 0
    .sgpr_count:     32
    .sgpr_spill_count: 0
    .symbol:         fft_rtc_back_len100_factors_10_5_2_wgs_200_tpt_10_dim2_dp_op_CI_CI_sbrc_aligned_dirReg.kd
    .uniform_work_group_size: 1
    .uses_dynamic_stack: false
    .vgpr_count:     111
    .vgpr_spill_count: 0
    .wavefront_size: 32
    .workgroup_processor_mode: 1
amdhsa.target:   amdgcn-amd-amdhsa--gfx1201
amdhsa.version:
  - 1
  - 2
...

	.end_amdgpu_metadata
